;; amdgpu-corpus repo=ROCm/rocFFT kind=compiled arch=gfx1030 opt=O3
	.text
	.amdgcn_target "amdgcn-amd-amdhsa--gfx1030"
	.amdhsa_code_object_version 6
	.protected	fft_rtc_back_len726_factors_11_6_11_wgs_132_tpt_66_sp_op_CI_CI_unitstride_sbrr_C2R_dirReg ; -- Begin function fft_rtc_back_len726_factors_11_6_11_wgs_132_tpt_66_sp_op_CI_CI_unitstride_sbrr_C2R_dirReg
	.globl	fft_rtc_back_len726_factors_11_6_11_wgs_132_tpt_66_sp_op_CI_CI_unitstride_sbrr_C2R_dirReg
	.p2align	8
	.type	fft_rtc_back_len726_factors_11_6_11_wgs_132_tpt_66_sp_op_CI_CI_unitstride_sbrr_C2R_dirReg,@function
fft_rtc_back_len726_factors_11_6_11_wgs_132_tpt_66_sp_op_CI_CI_unitstride_sbrr_C2R_dirReg: ; @fft_rtc_back_len726_factors_11_6_11_wgs_132_tpt_66_sp_op_CI_CI_unitstride_sbrr_C2R_dirReg
; %bb.0:
	s_clause 0x2
	s_load_dwordx4 s[12:15], s[4:5], 0x0
	s_load_dwordx4 s[8:11], s[4:5], 0x58
	;; [unrolled: 1-line block ×3, first 2 shown]
	v_mul_u32_u24_e32 v1, 0x3e1, v0
	v_mov_b32_e32 v3, 0
	v_lshrrev_b32_e32 v7, 16, v1
	v_mov_b32_e32 v1, 0
	v_mov_b32_e32 v6, v3
	v_mov_b32_e32 v2, 0
	v_lshl_add_u32 v5, s6, 1, v7
	s_waitcnt lgkmcnt(0)
	v_cmp_lt_u64_e64 s0, s[14:15], 2
	s_and_b32 vcc_lo, exec_lo, s0
	s_cbranch_vccnz .LBB0_8
; %bb.1:
	s_load_dwordx2 s[0:1], s[4:5], 0x10
	v_mov_b32_e32 v1, 0
	v_mov_b32_e32 v2, 0
	s_add_u32 s2, s18, 8
	s_addc_u32 s3, s19, 0
	s_add_u32 s6, s16, 8
	s_addc_u32 s7, s17, 0
	v_mov_b32_e32 v37, v2
	v_mov_b32_e32 v36, v1
	s_mov_b64 s[22:23], 1
	s_waitcnt lgkmcnt(0)
	s_add_u32 s20, s0, 8
	s_addc_u32 s21, s1, 0
.LBB0_2:                                ; =>This Inner Loop Header: Depth=1
	s_load_dwordx2 s[24:25], s[20:21], 0x0
                                        ; implicit-def: $vgpr38_vgpr39
	s_mov_b32 s0, exec_lo
	s_waitcnt lgkmcnt(0)
	v_or_b32_e32 v4, s25, v6
	v_cmpx_ne_u64_e32 0, v[3:4]
	s_xor_b32 s1, exec_lo, s0
	s_cbranch_execz .LBB0_4
; %bb.3:                                ;   in Loop: Header=BB0_2 Depth=1
	v_cvt_f32_u32_e32 v4, s24
	v_cvt_f32_u32_e32 v8, s25
	s_sub_u32 s0, 0, s24
	s_subb_u32 s26, 0, s25
	v_fmac_f32_e32 v4, 0x4f800000, v8
	v_rcp_f32_e32 v4, v4
	v_mul_f32_e32 v4, 0x5f7ffffc, v4
	v_mul_f32_e32 v8, 0x2f800000, v4
	v_trunc_f32_e32 v8, v8
	v_fmac_f32_e32 v4, 0xcf800000, v8
	v_cvt_u32_f32_e32 v8, v8
	v_cvt_u32_f32_e32 v4, v4
	v_mul_lo_u32 v9, s0, v8
	v_mul_hi_u32 v10, s0, v4
	v_mul_lo_u32 v11, s26, v4
	v_add_nc_u32_e32 v9, v10, v9
	v_mul_lo_u32 v10, s0, v4
	v_add_nc_u32_e32 v9, v9, v11
	v_mul_hi_u32 v11, v4, v10
	v_mul_lo_u32 v12, v4, v9
	v_mul_hi_u32 v13, v4, v9
	v_mul_hi_u32 v14, v8, v10
	v_mul_lo_u32 v10, v8, v10
	v_mul_hi_u32 v15, v8, v9
	v_mul_lo_u32 v9, v8, v9
	v_add_co_u32 v11, vcc_lo, v11, v12
	v_add_co_ci_u32_e32 v12, vcc_lo, 0, v13, vcc_lo
	v_add_co_u32 v10, vcc_lo, v11, v10
	v_add_co_ci_u32_e32 v10, vcc_lo, v12, v14, vcc_lo
	v_add_co_ci_u32_e32 v11, vcc_lo, 0, v15, vcc_lo
	v_add_co_u32 v9, vcc_lo, v10, v9
	v_add_co_ci_u32_e32 v10, vcc_lo, 0, v11, vcc_lo
	v_add_co_u32 v4, vcc_lo, v4, v9
	v_add_co_ci_u32_e32 v8, vcc_lo, v8, v10, vcc_lo
	v_mul_hi_u32 v9, s0, v4
	v_mul_lo_u32 v11, s26, v4
	v_mul_lo_u32 v10, s0, v8
	v_add_nc_u32_e32 v9, v9, v10
	v_mul_lo_u32 v10, s0, v4
	v_add_nc_u32_e32 v9, v9, v11
	v_mul_hi_u32 v11, v4, v10
	v_mul_lo_u32 v12, v4, v9
	v_mul_hi_u32 v13, v4, v9
	v_mul_hi_u32 v14, v8, v10
	v_mul_lo_u32 v10, v8, v10
	v_mul_hi_u32 v15, v8, v9
	v_mul_lo_u32 v9, v8, v9
	v_add_co_u32 v11, vcc_lo, v11, v12
	v_add_co_ci_u32_e32 v12, vcc_lo, 0, v13, vcc_lo
	v_add_co_u32 v10, vcc_lo, v11, v10
	v_add_co_ci_u32_e32 v10, vcc_lo, v12, v14, vcc_lo
	v_add_co_ci_u32_e32 v11, vcc_lo, 0, v15, vcc_lo
	v_add_co_u32 v9, vcc_lo, v10, v9
	v_add_co_ci_u32_e32 v10, vcc_lo, 0, v11, vcc_lo
	v_add_co_u32 v4, vcc_lo, v4, v9
	v_add_co_ci_u32_e32 v12, vcc_lo, v8, v10, vcc_lo
	v_mul_hi_u32 v14, v5, v4
	v_mad_u64_u32 v[10:11], null, v6, v4, 0
	v_mad_u64_u32 v[8:9], null, v5, v12, 0
	v_mad_u64_u32 v[12:13], null, v6, v12, 0
	v_add_co_u32 v4, vcc_lo, v14, v8
	v_add_co_ci_u32_e32 v8, vcc_lo, 0, v9, vcc_lo
	v_add_co_u32 v4, vcc_lo, v4, v10
	v_add_co_ci_u32_e32 v4, vcc_lo, v8, v11, vcc_lo
	v_add_co_ci_u32_e32 v8, vcc_lo, 0, v13, vcc_lo
	v_add_co_u32 v4, vcc_lo, v4, v12
	v_add_co_ci_u32_e32 v10, vcc_lo, 0, v8, vcc_lo
	v_mul_lo_u32 v11, s25, v4
	v_mad_u64_u32 v[8:9], null, s24, v4, 0
	v_mul_lo_u32 v12, s24, v10
	v_sub_co_u32 v8, vcc_lo, v5, v8
	v_add3_u32 v9, v9, v12, v11
	v_sub_nc_u32_e32 v11, v6, v9
	v_subrev_co_ci_u32_e64 v11, s0, s25, v11, vcc_lo
	v_add_co_u32 v12, s0, v4, 2
	v_add_co_ci_u32_e64 v13, s0, 0, v10, s0
	v_sub_co_u32 v14, s0, v8, s24
	v_sub_co_ci_u32_e32 v9, vcc_lo, v6, v9, vcc_lo
	v_subrev_co_ci_u32_e64 v11, s0, 0, v11, s0
	v_cmp_le_u32_e32 vcc_lo, s24, v14
	v_cmp_eq_u32_e64 s0, s25, v9
	v_cndmask_b32_e64 v14, 0, -1, vcc_lo
	v_cmp_le_u32_e32 vcc_lo, s25, v11
	v_cndmask_b32_e64 v15, 0, -1, vcc_lo
	v_cmp_le_u32_e32 vcc_lo, s24, v8
	;; [unrolled: 2-line block ×3, first 2 shown]
	v_cndmask_b32_e64 v16, 0, -1, vcc_lo
	v_cmp_eq_u32_e32 vcc_lo, s25, v11
	v_cndmask_b32_e64 v8, v16, v8, s0
	v_cndmask_b32_e32 v11, v15, v14, vcc_lo
	v_add_co_u32 v14, vcc_lo, v4, 1
	v_add_co_ci_u32_e32 v15, vcc_lo, 0, v10, vcc_lo
	v_cmp_ne_u32_e32 vcc_lo, 0, v11
	v_cndmask_b32_e32 v9, v15, v13, vcc_lo
	v_cndmask_b32_e32 v11, v14, v12, vcc_lo
	v_cmp_ne_u32_e32 vcc_lo, 0, v8
	v_cndmask_b32_e32 v39, v10, v9, vcc_lo
	v_cndmask_b32_e32 v38, v4, v11, vcc_lo
.LBB0_4:                                ;   in Loop: Header=BB0_2 Depth=1
	s_andn2_saveexec_b32 s0, s1
	s_cbranch_execz .LBB0_6
; %bb.5:                                ;   in Loop: Header=BB0_2 Depth=1
	v_cvt_f32_u32_e32 v4, s24
	s_sub_i32 s1, 0, s24
	v_mov_b32_e32 v39, v3
	v_rcp_iflag_f32_e32 v4, v4
	v_mul_f32_e32 v4, 0x4f7ffffe, v4
	v_cvt_u32_f32_e32 v4, v4
	v_mul_lo_u32 v8, s1, v4
	v_mul_hi_u32 v8, v4, v8
	v_add_nc_u32_e32 v4, v4, v8
	v_mul_hi_u32 v4, v5, v4
	v_mul_lo_u32 v8, v4, s24
	v_add_nc_u32_e32 v9, 1, v4
	v_sub_nc_u32_e32 v8, v5, v8
	v_subrev_nc_u32_e32 v10, s24, v8
	v_cmp_le_u32_e32 vcc_lo, s24, v8
	v_cndmask_b32_e32 v8, v8, v10, vcc_lo
	v_cndmask_b32_e32 v4, v4, v9, vcc_lo
	v_cmp_le_u32_e32 vcc_lo, s24, v8
	v_add_nc_u32_e32 v9, 1, v4
	v_cndmask_b32_e32 v38, v4, v9, vcc_lo
.LBB0_6:                                ;   in Loop: Header=BB0_2 Depth=1
	s_or_b32 exec_lo, exec_lo, s0
	v_mul_lo_u32 v4, v39, s24
	v_mul_lo_u32 v10, v38, s25
	s_load_dwordx2 s[0:1], s[6:7], 0x0
	v_mad_u64_u32 v[8:9], null, v38, s24, 0
	s_load_dwordx2 s[24:25], s[2:3], 0x0
	s_add_u32 s22, s22, 1
	s_addc_u32 s23, s23, 0
	s_add_u32 s2, s2, 8
	s_addc_u32 s3, s3, 0
	s_add_u32 s6, s6, 8
	v_add3_u32 v4, v9, v10, v4
	v_sub_co_u32 v5, vcc_lo, v5, v8
	s_addc_u32 s7, s7, 0
	s_add_u32 s20, s20, 8
	v_sub_co_ci_u32_e32 v4, vcc_lo, v6, v4, vcc_lo
	s_addc_u32 s21, s21, 0
	s_waitcnt lgkmcnt(0)
	v_mul_lo_u32 v6, s0, v4
	v_mul_lo_u32 v8, s1, v5
	v_mad_u64_u32 v[1:2], null, s0, v5, v[1:2]
	v_mul_lo_u32 v4, s24, v4
	v_mul_lo_u32 v9, s25, v5
	v_mad_u64_u32 v[36:37], null, s24, v5, v[36:37]
	v_cmp_ge_u64_e64 s0, s[22:23], s[14:15]
	v_add3_u32 v2, v8, v2, v6
	v_add3_u32 v37, v9, v37, v4
	s_and_b32 vcc_lo, exec_lo, s0
	s_cbranch_vccnz .LBB0_9
; %bb.7:                                ;   in Loop: Header=BB0_2 Depth=1
	v_mov_b32_e32 v5, v38
	v_mov_b32_e32 v6, v39
	s_branch .LBB0_2
.LBB0_8:
	v_mov_b32_e32 v37, v2
	v_mov_b32_e32 v39, v6
	;; [unrolled: 1-line block ×4, first 2 shown]
.LBB0_9:
	s_load_dwordx2 s[0:1], s[4:5], 0x28
	v_and_b32_e32 v3, 1, v7
	v_mul_hi_u32 v4, 0x3e0f83f, v0
	s_lshl_b64 s[4:5], s[14:15], 3
                                        ; implicit-def: $vgpr40
	s_add_u32 s2, s18, s4
	s_addc_u32 s3, s19, s5
	s_waitcnt lgkmcnt(0)
	v_cmp_gt_u64_e32 vcc_lo, s[0:1], v[38:39]
	v_cmp_le_u64_e64 s1, s[0:1], v[38:39]
	v_cmp_eq_u32_e64 s0, 1, v3
	s_and_saveexec_b32 s6, s1
	s_xor_b32 s1, exec_lo, s6
; %bb.10:
	v_mul_u32_u24_e32 v1, 0x42, v4
                                        ; implicit-def: $vgpr4
	v_sub_nc_u32_e32 v40, v0, v1
                                        ; implicit-def: $vgpr0
                                        ; implicit-def: $vgpr1_vgpr2
; %bb.11:
	s_or_saveexec_b32 s1, s1
	s_load_dwordx2 s[2:3], s[2:3], 0x0
	v_cndmask_b32_e64 v3, 0, 0x2d7, s0
	v_lshlrev_b32_e32 v24, 3, v3
	s_xor_b32 exec_lo, exec_lo, s1
	s_cbranch_execz .LBB0_15
; %bb.12:
	s_add_u32 s4, s16, s4
	s_addc_u32 s5, s17, s5
	v_lshlrev_b64 v[1:2], 3, v[1:2]
	s_load_dwordx2 s[4:5], s[4:5], 0x0
	s_waitcnt lgkmcnt(0)
	v_mul_lo_u32 v7, s5, v38
	v_mul_lo_u32 v8, s4, v39
	v_mad_u64_u32 v[5:6], null, s4, v38, 0
	s_mov_b32 s4, exec_lo
	v_add3_u32 v6, v6, v8, v7
	v_mul_u32_u24_e32 v7, 0x42, v4
	v_lshlrev_b64 v[4:5], 3, v[5:6]
	v_sub_nc_u32_e32 v40, v0, v7
	v_lshlrev_b32_e32 v27, 3, v40
	v_add_co_u32 v0, s0, s8, v4
	v_add_co_ci_u32_e64 v4, s0, s9, v5, s0
	v_add_co_u32 v0, s0, v0, v1
	v_add_co_ci_u32_e64 v1, s0, v4, v2, s0
	v_add3_u32 v2, 0, v24, v27
	v_add_co_u32 v4, s0, v0, v27
	v_add_co_ci_u32_e64 v5, s0, 0, v1, s0
	s_clause 0x3
	global_load_dwordx2 v[6:7], v[4:5], off
	global_load_dwordx2 v[8:9], v[4:5], off offset:528
	global_load_dwordx2 v[10:11], v[4:5], off offset:1056
	;; [unrolled: 1-line block ×3, first 2 shown]
	v_add_co_u32 v14, s0, 0x800, v4
	v_add_co_ci_u32_e64 v15, s0, 0, v5, s0
	v_add_co_u32 v4, s0, 0x1000, v4
	v_add_co_ci_u32_e64 v5, s0, 0, v5, s0
	s_clause 0x6
	global_load_dwordx2 v[16:17], v[14:15], off offset:64
	global_load_dwordx2 v[18:19], v[14:15], off offset:592
	;; [unrolled: 1-line block ×7, first 2 shown]
	v_add_nc_u32_e32 v27, 0x800, v2
	v_add_nc_u32_e32 v28, 0x1000, v2
	s_waitcnt vmcnt(9)
	ds_write2_b64 v2, v[6:7], v[8:9] offset1:66
	s_waitcnt vmcnt(7)
	ds_write2_b64 v2, v[10:11], v[12:13] offset0:132 offset1:198
	s_waitcnt vmcnt(5)
	ds_write2_b64 v27, v[16:17], v[18:19] offset0:8 offset1:74
	;; [unrolled: 2-line block ×4, first 2 shown]
	s_waitcnt vmcnt(0)
	ds_write_b64 v2, v[4:5] offset:5280
	v_cmpx_eq_u32_e32 0x41, v40
	s_cbranch_execz .LBB0_14
; %bb.13:
	v_add_co_u32 v0, s0, 0x1000, v0
	v_add_co_ci_u32_e64 v1, s0, 0, v1, s0
	v_mov_b32_e32 v40, 0x41
	global_load_dwordx2 v[0:1], v[0:1], off offset:1712
	s_waitcnt vmcnt(0)
	ds_write_b64 v2, v[0:1] offset:5288
.LBB0_14:
	s_or_b32 exec_lo, exec_lo, s4
.LBB0_15:
	s_or_b32 exec_lo, exec_lo, s1
	v_lshl_add_u32 v47, v3, 3, 0
	v_lshlrev_b32_e32 v4, 3, v40
	s_waitcnt lgkmcnt(0)
	s_barrier
	buffer_gl0_inv
	s_add_u32 s1, s12, 0x1658
	v_add_nc_u32_e32 v42, v47, v4
	v_sub_nc_u32_e32 v5, v47, v4
	s_addc_u32 s4, s13, 0
	s_mov_b32 s5, exec_lo
	ds_read_b32 v6, v42
	ds_read_b32 v7, v5 offset:5808
                                        ; implicit-def: $vgpr2_vgpr3
	s_waitcnt lgkmcnt(0)
	v_add_f32_e32 v0, v7, v6
	v_sub_f32_e32 v1, v6, v7
	v_cmpx_ne_u32_e32 0, v40
	s_xor_b32 s5, exec_lo, s5
	s_cbranch_execz .LBB0_17
; %bb.16:
	v_mov_b32_e32 v41, 0
	v_add_f32_e32 v8, v7, v6
	v_sub_f32_e32 v9, v6, v7
	v_lshlrev_b64 v[0:1], 3, v[40:41]
	v_add_co_u32 v0, s0, s1, v0
	v_add_co_ci_u32_e64 v1, s0, s4, v1, s0
	global_load_dwordx2 v[2:3], v[0:1], off
	ds_read_b32 v0, v5 offset:5812
	ds_read_b32 v1, v42 offset:4
	s_waitcnt lgkmcnt(0)
	v_add_f32_e32 v10, v0, v1
	v_sub_f32_e32 v0, v1, v0
	s_waitcnt vmcnt(0)
	v_fma_f32 v6, -v9, v3, v8
	v_fma_f32 v7, v10, v3, -v0
	v_fma_f32 v11, v9, v3, v8
	v_fma_f32 v1, v10, v3, v0
	v_fmac_f32_e32 v6, v2, v10
	v_fmac_f32_e32 v7, v9, v2
	v_fma_f32 v0, -v2, v10, v11
	v_fmac_f32_e32 v1, v9, v2
	v_mov_b32_e32 v2, v40
	v_mov_b32_e32 v3, v41
	ds_write_b64 v5, v[6:7] offset:5808
.LBB0_17:
	s_andn2_saveexec_b32 s0, s5
	s_cbranch_execz .LBB0_19
; %bb.18:
	ds_read_b64 v[2:3], v47 offset:2904
	s_waitcnt lgkmcnt(0)
	v_add_f32_e32 v6, v2, v2
	v_mul_f32_e32 v7, -2.0, v3
	v_mov_b32_e32 v2, 0
	v_mov_b32_e32 v3, 0
	ds_write_b64 v47, v[6:7] offset:2904
.LBB0_19:
	s_or_b32 exec_lo, exec_lo, s0
	v_lshlrev_b64 v[2:3], 3, v[2:3]
	v_add_co_u32 v2, s0, s1, v2
	v_add_co_ci_u32_e64 v3, s0, s4, v3, s0
	s_mov_b32 s1, exec_lo
	s_clause 0x2
	global_load_dwordx2 v[6:7], v[2:3], off offset:528
	global_load_dwordx2 v[8:9], v[2:3], off offset:1056
	;; [unrolled: 1-line block ×3, first 2 shown]
	v_add_co_u32 v2, s0, 0x800, v2
	v_add_co_ci_u32_e64 v3, s0, 0, v3, s0
	ds_write_b64 v42, v[0:1]
	global_load_dwordx2 v[12:13], v[2:3], off offset:64
	ds_read_b64 v[0:1], v42 offset:528
	ds_read_b64 v[14:15], v5 offset:5280
	s_waitcnt lgkmcnt(0)
	v_add_f32_e32 v16, v0, v14
	v_add_f32_e32 v17, v15, v1
	v_sub_f32_e32 v18, v0, v14
	v_sub_f32_e32 v0, v1, v15
	s_waitcnt vmcnt(3)
	v_fma_f32 v19, v18, v7, v16
	v_fma_f32 v1, v17, v7, v0
	v_fma_f32 v14, -v18, v7, v16
	v_fma_f32 v15, v17, v7, -v0
	v_fma_f32 v0, -v6, v17, v19
	v_fmac_f32_e32 v1, v18, v6
	v_fmac_f32_e32 v14, v6, v17
	v_fmac_f32_e32 v15, v18, v6
	ds_write_b64 v42, v[0:1] offset:528
	ds_write_b64 v5, v[14:15] offset:5280
	ds_read_b64 v[0:1], v42 offset:1056
	ds_read_b64 v[6:7], v5 offset:4752
	s_waitcnt lgkmcnt(0)
	v_add_f32_e32 v14, v0, v6
	v_add_f32_e32 v15, v7, v1
	v_sub_f32_e32 v16, v0, v6
	v_sub_f32_e32 v0, v1, v7
	s_waitcnt vmcnt(2)
	v_fma_f32 v17, v16, v9, v14
	v_fma_f32 v1, v15, v9, v0
	v_fma_f32 v6, -v16, v9, v14
	v_fma_f32 v7, v15, v9, -v0
	v_fma_f32 v0, -v8, v15, v17
	v_fmac_f32_e32 v1, v16, v8
	v_fmac_f32_e32 v6, v8, v15
	v_fmac_f32_e32 v7, v16, v8
	ds_write_b64 v42, v[0:1] offset:1056
	ds_write_b64 v5, v[6:7] offset:4752
	;; [unrolled: 18-line block ×4, first 2 shown]
	v_cmpx_gt_u32_e32 33, v40
	s_cbranch_execz .LBB0_21
; %bb.20:
	global_load_dwordx2 v[0:1], v[2:3], off offset:592
	ds_read_b64 v[2:3], v42 offset:2640
	ds_read_b64 v[6:7], v5 offset:3168
	s_waitcnt lgkmcnt(0)
	v_add_f32_e32 v8, v2, v6
	v_add_f32_e32 v9, v7, v3
	v_sub_f32_e32 v10, v2, v6
	v_sub_f32_e32 v3, v3, v7
	s_waitcnt vmcnt(0)
	v_fma_f32 v11, v10, v1, v8
	v_fma_f32 v2, v9, v1, v3
	v_fma_f32 v6, -v10, v1, v8
	v_fma_f32 v7, v9, v1, -v3
	v_fma_f32 v1, -v0, v9, v11
	v_fmac_f32_e32 v2, v10, v0
	v_fmac_f32_e32 v6, v0, v9
	;; [unrolled: 1-line block ×3, first 2 shown]
	ds_write_b64 v42, v[1:2] offset:2640
	ds_write_b64 v5, v[6:7] offset:3168
.LBB0_21:
	s_or_b32 exec_lo, exec_lo, s1
	v_add3_u32 v48, 0, v4, v24
	s_waitcnt lgkmcnt(0)
	s_barrier
	buffer_gl0_inv
	s_barrier
	buffer_gl0_inv
	ds_read_b64 v[0:1], v42
	ds_read2_b64 v[4:7], v48 offset0:66 offset1:132
	v_add_nc_u32_e32 v2, 0x1000, v48
	v_add_nc_u32_e32 v3, 0x400, v48
	ds_read2_b64 v[9:12], v2 offset0:82 offset1:148
	ds_read2_b64 v[13:16], v3 offset0:70 offset1:136
	v_add_nc_u32_e32 v8, 0x800, v48
	v_add_nc_u32_e32 v3, 0xc00, v48
	ds_read2_b64 v[17:20], v8 offset0:74 offset1:140
	ds_read2_b64 v[25:28], v3 offset0:78 offset1:144
	s_waitcnt lgkmcnt(0)
	s_barrier
	buffer_gl0_inv
	v_cmp_gt_u32_e64 s0, 55, v40
	v_add_f32_e32 v21, v0, v4
	v_add_f32_e32 v22, v1, v5
	;; [unrolled: 1-line block ×4, first 2 shown]
	v_sub_f32_e32 v29, v5, v12
	v_add_f32_e32 v23, v11, v4
	v_add_f32_e32 v5, v12, v5
	;; [unrolled: 1-line block ×4, first 2 shown]
	v_mul_f32_e32 v30, 0xbf0a6770, v29
	v_mul_f32_e32 v34, 0xbf7d64f0, v29
	v_sub_f32_e32 v53, v7, v10
	v_add_f32_e32 v21, v21, v15
	v_add_f32_e32 v22, v22, v16
	v_sub_f32_e32 v4, v4, v11
	v_mul_f32_e32 v31, 0x3f575c64, v5
	v_mul_f32_e32 v32, 0xbf68dda4, v29
	v_add_f32_e32 v21, v21, v17
	v_add_f32_e32 v22, v22, v18
	v_mul_f32_e32 v33, 0x3ed4b147, v5
	v_mul_f32_e32 v35, 0xbe11bafb, v5
	;; [unrolled: 1-line block ×3, first 2 shown]
	v_add_f32_e32 v21, v21, v19
	v_add_f32_e32 v22, v22, v20
	v_mul_f32_e32 v43, 0xbf27a4f4, v5
	v_fmamk_f32 v44, v23, 0x3f575c64, v30
	v_fmamk_f32 v50, v23, 0xbe11bafb, v34
	v_add_f32_e32 v21, v21, v25
	v_add_f32_e32 v22, v22, v26
	v_fma_f32 v34, 0xbe11bafb, v23, -v34
	v_mul_f32_e32 v29, 0xbe903f40, v29
	v_mul_f32_e32 v5, 0xbf75a155, v5
	v_add_f32_e32 v21, v21, v27
	v_add_f32_e32 v22, v22, v28
	;; [unrolled: 1-line block ×3, first 2 shown]
	v_mul_f32_e32 v56, 0xbf68dda4, v53
	v_add_f32_e32 v7, v10, v7
	v_add_f32_e32 v21, v21, v9
	;; [unrolled: 1-line block ×3, first 2 shown]
	v_fmamk_f32 v45, v4, 0x3f0a6770, v31
	v_fma_f32 v30, 0x3f575c64, v23, -v30
	v_fmac_f32_e32 v31, 0xbf0a6770, v4
	v_fmamk_f32 v46, v23, 0x3ed4b147, v32
	v_fmamk_f32 v49, v4, 0x3f68dda4, v33
	v_fma_f32 v32, 0x3ed4b147, v23, -v32
	v_fmac_f32_e32 v33, 0xbf68dda4, v4
	v_fmamk_f32 v51, v4, 0x3f7d64f0, v35
	v_fmac_f32_e32 v35, 0xbf7d64f0, v4
	v_add_f32_e32 v44, v0, v44
	v_add_f32_e32 v11, v21, v11
	;; [unrolled: 1-line block ×3, first 2 shown]
	v_fmamk_f32 v21, v23, 0xbf27a4f4, v41
	v_add_f32_e32 v22, v0, v34
	v_fmamk_f32 v34, v4, 0x3f4178ce, v43
	v_fma_f32 v41, 0xbf27a4f4, v23, -v41
	v_fmac_f32_e32 v43, 0xbf4178ce, v4
	v_fmamk_f32 v52, v23, 0xbf75a155, v29
	v_fmamk_f32 v54, v4, 0x3e903f40, v5
	v_fma_f32 v10, 0xbf75a155, v23, -v29
	v_fmac_f32_e32 v5, 0xbe903f40, v4
	v_sub_f32_e32 v4, v6, v9
	v_fmamk_f32 v6, v55, 0x3ed4b147, v56
	v_mul_f32_e32 v9, 0x3ed4b147, v7
	v_add_f32_e32 v45, v1, v45
	v_add_f32_e32 v30, v0, v30
	;; [unrolled: 1-line block ×19, first 2 shown]
	v_fmamk_f32 v6, v4, 0x3f68dda4, v9
	v_mul_f32_e32 v10, 0xbf4178ce, v53
	v_fma_f32 v29, 0x3ed4b147, v55, -v56
	v_fmac_f32_e32 v9, 0xbf68dda4, v4
	v_mul_f32_e32 v44, 0xbf27a4f4, v7
	v_add_f32_e32 v6, v6, v45
	v_fmamk_f32 v45, v55, 0xbf27a4f4, v10
	v_add_f32_e32 v29, v29, v30
	v_add_f32_e32 v9, v9, v31
	v_fmamk_f32 v30, v4, 0x3f4178ce, v44
	v_mul_f32_e32 v31, 0x3e903f40, v53
	v_add_f32_e32 v45, v45, v46
	v_fma_f32 v10, 0xbf27a4f4, v55, -v10
	v_fmac_f32_e32 v44, 0xbf4178ce, v4
	v_add_f32_e32 v30, v30, v49
	v_fmamk_f32 v46, v55, 0xbf75a155, v31
	v_mul_f32_e32 v49, 0xbf75a155, v7
	v_add_f32_e32 v10, v10, v32
	v_add_f32_e32 v32, v44, v33
	v_mul_f32_e32 v33, 0x3f7d64f0, v53
	v_add_f32_e32 v44, v46, v50
	v_fmamk_f32 v46, v4, 0xbe903f40, v49
	v_fma_f32 v31, 0xbf75a155, v55, -v31
	v_fmac_f32_e32 v49, 0x3e903f40, v4
	v_mul_f32_e32 v54, 0xbe11bafb, v7
	v_fmamk_f32 v50, v55, 0xbe11bafb, v33
	v_mul_f32_e32 v7, 0x3f575c64, v7
	v_add_f32_e32 v22, v31, v22
	v_add_f32_e32 v31, v49, v35
	v_fmamk_f32 v35, v4, 0xbf7d64f0, v54
	v_fma_f32 v33, 0xbe11bafb, v55, -v33
	v_fmac_f32_e32 v54, 0x3f7d64f0, v4
	v_add_f32_e32 v21, v50, v21
	v_mul_f32_e32 v49, 0x3f0a6770, v53
	v_fmamk_f32 v50, v4, 0xbf0a6770, v7
	v_add_f32_e32 v33, v33, v41
	v_add_f32_e32 v41, v54, v43
	v_sub_f32_e32 v43, v14, v28
	v_add_f32_e32 v14, v28, v14
	v_add_f32_e32 v34, v35, v34
	v_fmamk_f32 v35, v55, 0x3f575c64, v49
	v_add_f32_e32 v23, v50, v23
	v_add_f32_e32 v50, v27, v13
	v_mul_f32_e32 v28, 0xbf7d64f0, v43
	v_fma_f32 v49, 0x3f575c64, v55, -v49
	v_fmac_f32_e32 v7, 0x3f0a6770, v4
	v_sub_f32_e32 v4, v13, v27
	v_mul_f32_e32 v13, 0xbe11bafb, v14
	v_fmamk_f32 v27, v50, 0xbe11bafb, v28
	v_add_f32_e32 v0, v49, v0
	v_add_f32_e32 v1, v7, v1
	v_mul_f32_e32 v7, 0x3e903f40, v43
	v_fmamk_f32 v49, v4, 0x3f7d64f0, v13
	v_add_f32_e32 v5, v27, v5
	v_fma_f32 v27, 0xbe11bafb, v50, -v28
	v_fmac_f32_e32 v13, 0xbf7d64f0, v4
	v_fmamk_f32 v28, v50, 0xbf75a155, v7
	v_add_f32_e32 v6, v49, v6
	v_mul_f32_e32 v49, 0xbf75a155, v14
	v_add_f32_e32 v27, v27, v29
	v_add_f32_e32 v9, v13, v9
	;; [unrolled: 1-line block ×3, first 2 shown]
	v_mul_f32_e32 v45, 0x3ed4b147, v14
	v_fmamk_f32 v29, v4, 0xbe903f40, v49
	v_add_f32_e32 v46, v46, v51
	v_mul_f32_e32 v28, 0x3f68dda4, v43
	v_fma_f32 v7, 0xbf75a155, v50, -v7
	v_fmac_f32_e32 v49, 0x3e903f40, v4
	v_add_f32_e32 v29, v29, v30
	v_fmamk_f32 v30, v4, 0xbf68dda4, v45
	v_fmamk_f32 v51, v50, 0x3ed4b147, v28
	v_fma_f32 v28, 0x3ed4b147, v50, -v28
	v_fmac_f32_e32 v45, 0x3f68dda4, v4
	v_add_f32_e32 v7, v7, v10
	v_add_f32_e32 v30, v30, v46
	v_mul_f32_e32 v46, 0x3f575c64, v14
	v_add_f32_e32 v10, v49, v32
	v_add_f32_e32 v32, v51, v44
	v_mul_f32_e32 v44, 0xbf0a6770, v43
	;; [unrolled: 3-line block ×3, first 2 shown]
	v_fmamk_f32 v43, v4, 0x3f0a6770, v46
	v_add_f32_e32 v35, v35, v52
	v_fmamk_f32 v49, v50, 0x3f575c64, v44
	v_fma_f32 v44, 0x3f575c64, v50, -v44
	v_fmamk_f32 v45, v50, 0xbf27a4f4, v31
	v_add_f32_e32 v34, v43, v34
	v_mul_f32_e32 v14, 0xbf27a4f4, v14
	v_sub_f32_e32 v43, v16, v26
	v_add_f32_e32 v16, v26, v16
	v_fmac_f32_e32 v46, 0xbf0a6770, v4
	v_add_f32_e32 v33, v44, v33
	v_add_f32_e32 v35, v45, v35
	v_fmamk_f32 v44, v4, 0x3f4178ce, v14
	v_fma_f32 v31, 0xbf27a4f4, v50, -v31
	v_add_f32_e32 v26, v25, v15
	v_mul_f32_e32 v45, 0xbf4178ce, v43
	v_fmac_f32_e32 v14, 0xbf4178ce, v4
	v_sub_f32_e32 v4, v15, v25
	v_mul_f32_e32 v15, 0xbf27a4f4, v16
	v_add_f32_e32 v0, v31, v0
	v_fmamk_f32 v25, v26, 0xbf27a4f4, v45
	v_add_f32_e32 v1, v14, v1
	v_mul_f32_e32 v31, 0x3f7d64f0, v43
	v_fmamk_f32 v14, v4, 0x3f4178ce, v15
	v_fmac_f32_e32 v15, 0xbf4178ce, v4
	v_add_f32_e32 v23, v44, v23
	v_add_f32_e32 v5, v25, v5
	v_fma_f32 v25, 0xbf27a4f4, v26, -v45
	v_add_f32_e32 v6, v14, v6
	v_fmamk_f32 v14, v26, 0xbe11bafb, v31
	v_mul_f32_e32 v44, 0xbe11bafb, v16
	v_add_f32_e32 v15, v15, v9
	v_mul_f32_e32 v9, 0xbf0a6770, v43
	v_add_f32_e32 v25, v25, v27
	v_add_f32_e32 v13, v14, v13
	v_fmamk_f32 v14, v4, 0xbf7d64f0, v44
	v_fma_f32 v27, 0xbe11bafb, v26, -v31
	v_fmac_f32_e32 v44, 0x3f7d64f0, v4
	v_fmamk_f32 v31, v26, 0x3f575c64, v9
	v_mul_f32_e32 v45, 0x3f575c64, v16
	v_add_f32_e32 v14, v14, v29
	v_add_f32_e32 v7, v27, v7
	;; [unrolled: 1-line block ×4, first 2 shown]
	v_fmamk_f32 v10, v4, 0x3f0a6770, v45
	v_mul_f32_e32 v31, 0xbe903f40, v43
	v_fma_f32 v9, 0x3f575c64, v26, -v9
	v_mul_f32_e32 v32, 0xbf75a155, v16
	v_add_f32_e32 v21, v49, v21
	v_fmac_f32_e32 v45, 0xbf0a6770, v4
	v_add_f32_e32 v30, v10, v30
	v_fmamk_f32 v10, v26, 0xbf75a155, v31
	v_add_f32_e32 v22, v9, v22
	v_fmamk_f32 v9, v4, 0x3e903f40, v32
	v_mul_f32_e32 v43, 0x3f68dda4, v43
	v_add_f32_e32 v41, v46, v41
	v_add_f32_e32 v28, v45, v28
	;; [unrolled: 1-line block ×3, first 2 shown]
	v_fma_f32 v10, 0xbf75a155, v26, -v31
	v_fmac_f32_e32 v32, 0xbe903f40, v4
	v_add_f32_e32 v31, v9, v34
	v_fmamk_f32 v9, v26, 0x3ed4b147, v43
	v_mul_f32_e32 v16, 0x3ed4b147, v16
	v_sub_f32_e32 v34, v18, v20
	v_add_f32_e32 v45, v20, v18
	v_add_f32_e32 v33, v10, v33
	;; [unrolled: 1-line block ×4, first 2 shown]
	v_fmamk_f32 v9, v4, 0xbf68dda4, v16
	v_add_f32_e32 v41, v19, v17
	v_mul_f32_e32 v10, 0xbe903f40, v34
	v_fma_f32 v18, 0x3ed4b147, v26, -v43
	v_fmac_f32_e32 v16, 0x3f68dda4, v4
	v_sub_f32_e32 v4, v17, v19
	v_mul_f32_e32 v17, 0xbf75a155, v45
	v_fmamk_f32 v19, v41, 0xbf75a155, v10
	v_add_f32_e32 v43, v18, v0
	v_add_f32_e32 v26, v9, v23
	;; [unrolled: 1-line block ×3, first 2 shown]
	v_fmamk_f32 v0, v4, 0x3e903f40, v17
	v_add_f32_e32 v9, v19, v5
	v_mul_f32_e32 v5, 0x3f0a6770, v34
	v_fma_f32 v1, 0xbf75a155, v41, -v10
	v_fmac_f32_e32 v17, 0xbe903f40, v4
	v_add_f32_e32 v10, v0, v6
	v_mul_f32_e32 v6, 0x3f575c64, v45
	v_fmamk_f32 v16, v41, 0x3f575c64, v5
	v_add_f32_e32 v0, v1, v25
	v_add_f32_e32 v1, v17, v15
	v_mul_f32_e32 v15, 0xbf4178ce, v34
	v_fmamk_f32 v17, v4, 0xbf0a6770, v6
	v_fma_f32 v5, 0x3f575c64, v41, -v5
	v_fmac_f32_e32 v6, 0x3f0a6770, v4
	v_mul_f32_e32 v19, 0xbf27a4f4, v45
	v_add_f32_e32 v13, v16, v13
	v_fmamk_f32 v18, v41, 0xbf27a4f4, v15
	v_add_f32_e32 v14, v17, v14
	v_add_f32_e32 v16, v5, v7
	v_add_f32_e32 v17, v6, v27
	v_mul_f32_e32 v5, 0x3f68dda4, v34
	v_fmamk_f32 v6, v4, 0x3f4178ce, v19
	v_fma_f32 v7, 0xbf27a4f4, v41, -v15
	v_mul_f32_e32 v15, 0x3ed4b147, v45
	v_add_f32_e32 v20, v18, v29
	v_fmac_f32_e32 v19, 0xbf4178ce, v4
	v_fmamk_f32 v23, v41, 0x3ed4b147, v5
	v_add_f32_e32 v21, v6, v30
	v_add_f32_e32 v18, v7, v22
	v_fmamk_f32 v6, v4, 0xbf68dda4, v15
	v_fma_f32 v5, 0x3ed4b147, v41, -v5
	v_mul_f32_e32 v7, 0xbf7d64f0, v34
	v_mul_f32_e32 v27, 0xbe11bafb, v45
	v_fmac_f32_e32 v15, 0x3f68dda4, v4
	v_add_f32_e32 v19, v19, v28
	v_add_f32_e32 v22, v23, v44
	;; [unrolled: 1-line block ×4, first 2 shown]
	v_fmamk_f32 v5, v41, 0xbe11bafb, v7
	v_fmamk_f32 v28, v4, 0x3f7d64f0, v27
	v_fma_f32 v29, 0xbe11bafb, v41, -v7
	v_fmac_f32_e32 v27, 0xbf7d64f0, v4
	v_add_f32_e32 v7, v15, v32
	v_mad_u32_u24 v15, 0x50, v40, v48
	v_add_f32_e32 v25, v5, v35
	v_add_f32_e32 v26, v28, v26
	;; [unrolled: 1-line block ×4, first 2 shown]
	ds_write2_b64 v15, v[11:12], v[9:10] offset1:1
	ds_write2_b64 v15, v[13:14], v[20:21] offset0:2 offset1:3
	ds_write2_b64 v15, v[22:23], v[25:26] offset0:4 offset1:5
	ds_write2_b64 v15, v[4:5], v[6:7] offset0:6 offset1:7
	ds_write2_b64 v15, v[18:19], v[16:17] offset0:8 offset1:9
	ds_write_b64 v15, v[0:1] offset:80
	s_waitcnt lgkmcnt(0)
	s_barrier
	buffer_gl0_inv
	ds_read2_b64 v[12:15], v48 offset0:121 offset1:242
	ds_read2_b64 v[8:11], v8 offset0:107 offset1:228
	ds_read_b64 v[20:21], v42
	ds_read_b64 v[22:23], v48 offset:4840
	s_and_saveexec_b32 s1, s0
	s_cbranch_execz .LBB0_23
; %bb.22:
	ds_read2_b64 v[4:7], v48 offset0:66 offset1:187
	ds_read_b64 v[18:19], v48 offset:2464
	ds_read2_b32 v[16:17], v3 offset0:90 offset1:91
	ds_read2_b64 v[0:3], v2 offset0:38 offset1:159
.LBB0_23:
	s_or_b32 exec_lo, exec_lo, s1
	v_and_b32_e32 v25, 0xff, v40
	v_mul_lo_u16 v25, 0x75, v25
	v_lshrrev_b16 v25, 8, v25
	v_sub_nc_u16 v26, v40, v25
	v_lshrrev_b16 v26, 1, v26
	v_and_b32_e32 v26, 0x7f, v26
	v_add_nc_u16 v25, v26, v25
	v_lshrrev_b16 v26, 3, v25
	v_mov_b32_e32 v25, 5
	v_mul_lo_u16 v27, v26, 11
	v_sub_nc_u16 v35, v40, v27
	v_mul_u32_u24_sdwa v27, v35, v25 dst_sel:DWORD dst_unused:UNUSED_PAD src0_sel:BYTE_0 src1_sel:DWORD
	v_lshlrev_b32_e32 v41, 3, v27
	s_clause 0x2
	global_load_dwordx4 v[27:30], v41, s[12:13]
	global_load_dwordx4 v[31:34], v41, s[12:13] offset:16
	global_load_dwordx2 v[43:44], v41, s[12:13] offset:32
	v_and_b32_e32 v41, 0xffff, v26
	v_mov_b32_e32 v26, 3
	s_waitcnt vmcnt(0) lgkmcnt(0)
	s_barrier
	buffer_gl0_inv
	v_mad_u32_u24 v41, 0x210, v41, 0
	v_lshlrev_b32_sdwa v35, v26, v35 dst_sel:DWORD dst_unused:UNUSED_PAD src0_sel:DWORD src1_sel:BYTE_0
	v_add3_u32 v35, v41, v35, v24
	v_mul_f32_e32 v41, v28, v13
	v_mul_f32_e32 v28, v28, v12
	;; [unrolled: 1-line block ×10, first 2 shown]
	v_fmac_f32_e32 v41, v27, v12
	v_fma_f32 v12, v27, v13, -v28
	v_fmac_f32_e32 v46, v31, v8
	v_fma_f32 v8, v31, v9, -v32
	;; [unrolled: 2-line block ×4, first 2 shown]
	v_fma_f32 v9, v33, v11, -v34
	v_fmac_f32_e32 v50, v43, v22
	v_sub_f32_e32 v29, v8, v10
	v_add_f32_e32 v30, v12, v8
	v_add_f32_e32 v8, v8, v10
	;; [unrolled: 1-line block ×3, first 2 shown]
	v_sub_f32_e32 v15, v13, v9
	v_add_f32_e32 v22, v21, v13
	v_add_f32_e32 v13, v13, v9
	;; [unrolled: 1-line block ×3, first 2 shown]
	v_sub_f32_e32 v31, v46, v50
	v_fmac_f32_e32 v12, -0.5, v8
	v_add_f32_e32 v11, v20, v45
	v_sub_f32_e32 v23, v45, v49
	v_add_f32_e32 v27, v41, v46
	v_fma_f32 v20, -0.5, v14, v20
	v_add_f32_e32 v14, v22, v9
	v_fmac_f32_e32 v21, -0.5, v13
	v_fmac_f32_e32 v41, -0.5, v28
	v_add_f32_e32 v22, v30, v10
	v_fmamk_f32 v10, v31, 0x3f5db3d7, v12
	v_fmac_f32_e32 v12, 0xbf5db3d7, v31
	v_add_f32_e32 v13, v27, v50
	v_fmamk_f32 v27, v15, 0xbf5db3d7, v20
	v_fmac_f32_e32 v20, 0x3f5db3d7, v15
	v_fmamk_f32 v28, v23, 0x3f5db3d7, v21
	v_fmac_f32_e32 v21, 0xbf5db3d7, v23
	v_fmamk_f32 v15, v29, 0xbf5db3d7, v41
	v_mul_f32_e32 v23, 0xbf5db3d7, v10
	v_mul_f32_e32 v30, 0.5, v10
	v_fmac_f32_e32 v41, 0x3f5db3d7, v29
	v_mul_f32_e32 v29, 0xbf5db3d7, v12
	v_mul_f32_e32 v31, -0.5, v12
	v_add_f32_e32 v11, v11, v49
	v_fmac_f32_e32 v23, 0.5, v15
	v_fmac_f32_e32 v30, 0x3f5db3d7, v15
	v_fmac_f32_e32 v29, -0.5, v41
	v_fmac_f32_e32 v31, 0x3f5db3d7, v41
	v_add_f32_e32 v8, v11, v13
	v_add_f32_e32 v9, v14, v22
	v_sub_f32_e32 v10, v11, v13
	v_add_f32_e32 v12, v27, v23
	v_add_f32_e32 v13, v28, v30
	v_sub_f32_e32 v11, v14, v22
	;; [unrolled: 3-line block ×3, first 2 shown]
	v_sub_f32_e32 v20, v20, v29
	v_sub_f32_e32 v23, v28, v30
	;; [unrolled: 1-line block ×3, first 2 shown]
	ds_write2_b64 v35, v[8:9], v[12:13] offset1:11
	ds_write2_b64 v35, v[14:15], v[10:11] offset0:22 offset1:33
	ds_write2_b64 v35, v[22:23], v[20:21] offset0:44 offset1:55
	s_and_saveexec_b32 s1, s0
	s_cbranch_execz .LBB0_25
; %bb.24:
	v_add_nc_u16 v8, v40, 0x42
	v_and_b32_e32 v9, 0xff, v8
	v_mul_lo_u16 v9, 0x75, v9
	v_lshrrev_b16 v9, 8, v9
	v_sub_nc_u16 v10, v8, v9
	v_lshrrev_b16 v10, 1, v10
	v_and_b32_e32 v10, 0x7f, v10
	v_add_nc_u16 v9, v10, v9
	v_lshrrev_b16 v22, 3, v9
	v_mul_lo_u16 v9, v22, 11
	v_and_b32_e32 v22, 0xffff, v22
	v_sub_nc_u16 v23, v8, v9
	v_mad_u32_u24 v22, 0x210, v22, 0
	v_mul_u32_u24_sdwa v8, v23, v25 dst_sel:DWORD dst_unused:UNUSED_PAD src0_sel:BYTE_0 src1_sel:DWORD
	v_lshlrev_b32_sdwa v23, v26, v23 dst_sel:DWORD dst_unused:UNUSED_PAD src0_sel:DWORD src1_sel:BYTE_0
	v_lshlrev_b32_e32 v20, 3, v8
	v_add3_u32 v22, v22, v23, v24
	s_clause 0x2
	global_load_dwordx4 v[8:11], v20, s[12:13]
	global_load_dwordx4 v[12:15], v20, s[12:13] offset:16
	global_load_dwordx2 v[20:21], v20, s[12:13] offset:32
	s_waitcnt vmcnt(2)
	v_mul_f32_e32 v23, v18, v11
	s_waitcnt vmcnt(1)
	v_mul_f32_e32 v24, v0, v15
	v_mul_f32_e32 v15, v1, v15
	;; [unrolled: 1-line block ×3, first 2 shown]
	s_waitcnt vmcnt(0)
	v_mul_f32_e32 v27, v3, v21
	v_mul_f32_e32 v13, v16, v13
	;; [unrolled: 1-line block ×6, first 2 shown]
	v_fma_f32 v19, v19, v10, -v23
	v_fma_f32 v1, v1, v14, -v24
	v_fmac_f32_e32 v15, v0, v14
	v_fmac_f32_e32 v26, v16, v12
	v_fmac_f32_e32 v27, v2, v20
	v_fma_f32 v0, v17, v12, -v13
	v_fma_f32 v2, v3, v20, -v21
	v_fmac_f32_e32 v11, v18, v10
	v_fmac_f32_e32 v25, v6, v8
	v_fma_f32 v3, v7, v8, -v9
	v_add_f32_e32 v6, v19, v1
	v_add_f32_e32 v8, v26, v27
	;; [unrolled: 1-line block ×3, first 2 shown]
	v_sub_f32_e32 v7, v11, v15
	v_sub_f32_e32 v12, v26, v27
	v_add_f32_e32 v13, v5, v19
	v_add_f32_e32 v14, v11, v15
	;; [unrolled: 1-line block ×3, first 2 shown]
	v_fma_f32 v6, -0.5, v6, v5
	v_fma_f32 v5, -0.5, v8, v25
	v_fma_f32 v8, -0.5, v10, v3
	v_sub_f32_e32 v9, v0, v2
	v_add_f32_e32 v0, v3, v0
	v_sub_f32_e32 v16, v19, v1
	v_add_f32_e32 v17, v25, v26
	v_add_f32_e32 v3, v13, v1
	v_fma_f32 v13, -0.5, v14, v4
	v_add_f32_e32 v4, v11, v15
	v_fmamk_f32 v15, v12, 0xbf5db3d7, v8
	v_fmac_f32_e32 v8, 0x3f5db3d7, v12
	v_add_f32_e32 v10, v17, v27
	v_fmamk_f32 v14, v9, 0x3f5db3d7, v5
	v_fmac_f32_e32 v5, 0xbf5db3d7, v9
	v_fmamk_f32 v12, v16, 0x3f5db3d7, v13
	v_fmac_f32_e32 v13, 0xbf5db3d7, v16
	v_mul_f32_e32 v9, -0.5, v15
	v_mul_f32_e32 v16, 0.5, v8
	v_mul_f32_e32 v17, 0xbf5db3d7, v8
	v_mul_f32_e32 v15, 0xbf5db3d7, v15
	v_add_f32_e32 v2, v0, v2
	v_fmamk_f32 v11, v7, 0xbf5db3d7, v6
	v_fmac_f32_e32 v6, 0x3f5db3d7, v7
	v_fmac_f32_e32 v9, 0x3f5db3d7, v14
	;; [unrolled: 1-line block ×3, first 2 shown]
	v_fmac_f32_e32 v17, 0.5, v5
	v_fmac_f32_e32 v15, -0.5, v14
	v_sub_f32_e32 v1, v3, v2
	v_sub_f32_e32 v0, v4, v10
	v_add_f32_e32 v3, v3, v2
	v_add_f32_e32 v2, v4, v10
	v_sub_f32_e32 v5, v11, v9
	v_add_f32_e32 v9, v11, v9
	v_add_f32_e32 v11, v6, v16
	;; [unrolled: 1-line block ×4, first 2 shown]
	v_sub_f32_e32 v7, v6, v16
	v_sub_f32_e32 v4, v12, v15
	;; [unrolled: 1-line block ×3, first 2 shown]
	ds_write2_b64 v22, v[2:3], v[10:11] offset1:11
	ds_write2_b64 v22, v[8:9], v[0:1] offset0:22 offset1:33
	ds_write2_b64 v22, v[6:7], v[4:5] offset0:44 offset1:55
.LBB0_25:
	s_or_b32 exec_lo, exec_lo, s1
	v_mul_u32_u24_e32 v0, 10, v40
	s_waitcnt lgkmcnt(0)
	s_barrier
	buffer_gl0_inv
	v_add_nc_u32_e32 v20, 0x400, v48
	v_lshlrev_b32_e32 v16, 3, v0
	v_add_nc_u32_e32 v50, 0x800, v48
	v_add_nc_u32_e32 v49, 0x1000, v48
	s_clause 0x4
	global_load_dwordx4 v[12:15], v16, s[12:13] offset:440
	global_load_dwordx4 v[8:11], v16, s[12:13] offset:456
	global_load_dwordx4 v[4:7], v16, s[12:13] offset:472
	global_load_dwordx4 v[0:3], v16, s[12:13] offset:488
	global_load_dwordx4 v[16:19], v16, s[12:13] offset:504
	ds_read2_b64 v[32:35], v48 offset0:66 offset1:132
	ds_read2_b64 v[28:31], v20 offset0:70 offset1:136
	ds_read2_b32 v[45:46], v50 offset0:148 offset1:149
	ds_read2_b64 v[24:27], v50 offset0:140 offset1:206
	ds_read2_b64 v[20:23], v49 offset0:16 offset1:82
	ds_read_b64 v[43:44], v48 offset:5280
	ds_read_b64 v[41:42], v42
	s_waitcnt vmcnt(0) lgkmcnt(0)
	s_barrier
	buffer_gl0_inv
	v_mul_f32_e32 v51, v13, v33
	v_mul_f32_e32 v13, v13, v32
	;; [unrolled: 1-line block ×10, first 2 shown]
	v_fmac_f32_e32 v51, v12, v32
	v_fma_f32 v12, v12, v33, -v13
	v_mul_f32_e32 v53, v9, v29
	v_mul_f32_e32 v9, v9, v28
	v_mul_f32_e32 v54, v11, v31
	v_mul_f32_e32 v11, v11, v30
	v_mul_f32_e32 v55, v46, v5
	v_mul_f32_e32 v5, v5, v45
	v_mul_f32_e32 v56, v25, v7
	v_mul_f32_e32 v7, v24, v7
	v_mul_f32_e32 v59, v23, v17
	v_mul_f32_e32 v17, v22, v17
	v_fmac_f32_e32 v52, v14, v34
	v_fma_f32 v13, v14, v35, -v15
	v_fmac_f32_e32 v57, v26, v0
	v_fma_f32 v0, v27, v0, -v1
	;; [unrolled: 2-line block ×3, first 2 shown]
	v_fma_f32 v20, v44, v18, -v19
	v_add_f32_e32 v2, v51, v41
	v_add_f32_e32 v3, v12, v42
	v_fmac_f32_e32 v53, v8, v28
	v_fma_f32 v8, v8, v29, -v9
	v_fma_f32 v9, v10, v31, -v11
	v_fmac_f32_e32 v55, v4, v45
	v_fma_f32 v4, v46, v4, -v5
	v_fma_f32 v5, v25, v6, -v7
	v_fmac_f32_e32 v60, v43, v18
	v_fma_f32 v18, v23, v16, -v17
	v_add_f32_e32 v7, v12, v20
	v_sub_f32_e32 v11, v12, v20
	v_add_f32_e32 v2, v2, v52
	v_add_f32_e32 v3, v3, v13
	v_fmac_f32_e32 v54, v10, v30
	v_fmac_f32_e32 v56, v24, v6
	;; [unrolled: 1-line block ×3, first 2 shown]
	v_add_f32_e32 v6, v51, v60
	v_sub_f32_e32 v10, v51, v60
	v_add_f32_e32 v14, v13, v18
	v_sub_f32_e32 v16, v13, v18
	v_sub_f32_e32 v17, v8, v1
	v_add_f32_e32 v21, v8, v1
	v_sub_f32_e32 v23, v9, v0
	v_add_f32_e32 v25, v9, v0
	;; [unrolled: 2-line block ×3, first 2 shown]
	v_mul_f32_e32 v13, 0xbf0a6770, v11
	v_mul_f32_e32 v31, 0x3f575c64, v7
	;; [unrolled: 1-line block ×8, first 2 shown]
	v_add_f32_e32 v3, v3, v8
	v_add_f32_e32 v2, v2, v53
	v_mul_f32_e32 v11, 0xbe903f40, v11
	v_mul_f32_e32 v7, 0xbf75a155, v7
	v_add_f32_e32 v12, v52, v59
	v_sub_f32_e32 v15, v52, v59
	v_add_f32_e32 v19, v53, v58
	v_sub_f32_e32 v22, v53, v58
	;; [unrolled: 2-line block ×4, first 2 shown]
	v_mul_f32_e32 v45, 0xbf68dda4, v16
	v_mul_f32_e32 v46, 0x3ed4b147, v14
	;; [unrolled: 1-line block ×40, first 2 shown]
	v_fmamk_f32 v89, v6, 0x3f575c64, v13
	v_fmamk_f32 v90, v10, 0x3f0a6770, v31
	v_fma_f32 v13, 0x3f575c64, v6, -v13
	v_fmac_f32_e32 v31, 0xbf0a6770, v10
	v_fmamk_f32 v91, v6, 0x3ed4b147, v32
	v_fmamk_f32 v92, v10, 0x3f68dda4, v33
	v_fma_f32 v32, 0x3ed4b147, v6, -v32
	v_fmac_f32_e32 v33, 0xbf68dda4, v10
	v_fmamk_f32 v93, v6, 0xbe11bafb, v34
	v_fmamk_f32 v94, v10, 0x3f7d64f0, v35
	;; [unrolled: 1-line block ×4, first 2 shown]
	v_fma_f32 v43, 0xbf27a4f4, v6, -v43
	v_add_f32_e32 v2, v2, v54
	v_add_f32_e32 v3, v3, v9
	v_fma_f32 v34, 0xbe11bafb, v6, -v34
	v_fmac_f32_e32 v35, 0xbf7d64f0, v10
	v_fmamk_f32 v97, v6, 0xbf75a155, v11
	v_fmamk_f32 v98, v10, 0x3e903f40, v7
	v_fmac_f32_e32 v44, 0xbf4178ce, v10
	v_fma_f32 v6, 0xbf75a155, v6, -v11
	v_fmac_f32_e32 v7, 0xbe903f40, v10
	v_fmamk_f32 v10, v12, 0x3ed4b147, v45
	v_fma_f32 v11, 0x3ed4b147, v12, -v45
	v_fmamk_f32 v45, v12, 0xbf27a4f4, v51
	v_fma_f32 v51, 0xbf27a4f4, v12, -v51
	v_fmamk_f32 v99, v12, 0xbf75a155, v61
	v_fma_f32 v61, 0xbf75a155, v12, -v61
	v_fmamk_f32 v100, v12, 0xbe11bafb, v63
	v_fma_f32 v63, 0xbe11bafb, v12, -v63
	v_fmamk_f32 v101, v12, 0x3f575c64, v16
	v_fma_f32 v12, 0x3f575c64, v12, -v16
	v_fmamk_f32 v16, v15, 0x3f68dda4, v46
	v_fmac_f32_e32 v46, 0xbf68dda4, v15
	v_fmamk_f32 v102, v15, 0x3f4178ce, v52
	v_fmac_f32_e32 v52, 0xbf4178ce, v15
	v_fmamk_f32 v103, v15, 0xbe903f40, v62
	v_fmac_f32_e32 v62, 0x3e903f40, v15
	v_fmamk_f32 v104, v15, 0xbf7d64f0, v64
	v_fmac_f32_e32 v64, 0x3f7d64f0, v15
	v_fmamk_f32 v105, v15, 0xbf0a6770, v14
	v_fmac_f32_e32 v14, 0x3f0a6770, v15
	v_fmamk_f32 v15, v19, 0xbe11bafb, v65
	v_fma_f32 v65, 0xbe11bafb, v19, -v65
	v_fmamk_f32 v106, v19, 0xbf75a155, v66
	v_fma_f32 v66, 0xbf75a155, v19, -v66
	v_fmamk_f32 v107, v19, 0x3ed4b147, v67
	v_fma_f32 v67, 0x3ed4b147, v19, -v67
	v_fmamk_f32 v108, v19, 0x3f575c64, v68
	v_fma_f32 v68, 0x3f575c64, v19, -v68
	v_fmamk_f32 v109, v19, 0xbf27a4f4, v17
	v_fma_f32 v17, 0xbf27a4f4, v19, -v17
	v_fmamk_f32 v8, v22, 0x3f7d64f0, v69
	v_fmac_f32_e32 v69, 0xbf7d64f0, v22
	v_fmamk_f32 v19, v22, 0xbe903f40, v70
	v_fmac_f32_e32 v70, 0x3e903f40, v22
	v_fmamk_f32 v53, v22, 0xbf68dda4, v71
	v_fmac_f32_e32 v71, 0x3f68dda4, v22
	v_fmamk_f32 v110, v22, 0x3f0a6770, v72
	v_fmac_f32_e32 v72, 0xbf0a6770, v22
	v_fmamk_f32 v111, v22, 0x3f4178ce, v21
	;; [unrolled: 20-line block ×4, first 2 shown]
	v_fmac_f32_e32 v29, 0xbf7d64f0, v30
	v_add_f32_e32 v30, v89, v41
	v_add_f32_e32 v89, v90, v42
	;; [unrolled: 1-line block ×110, first 2 shown]
	ds_write2_b64 v48, v[4:5], v[8:9] offset0:132 offset1:198
	v_add_f32_e32 v4, v21, v60
	v_add_f32_e32 v5, v22, v20
	ds_write2_b64 v50, v[12:13], v[16:17] offset0:8 offset1:74
	ds_write2_b64 v50, v[18:19], v[14:15] offset0:140 offset1:206
	;; [unrolled: 1-line block ×3, first 2 shown]
	ds_write_b64 v48, v[2:3] offset:5280
	ds_write2_b64 v48, v[4:5], v[0:1] offset1:66
	s_waitcnt lgkmcnt(0)
	s_barrier
	buffer_gl0_inv
	s_and_saveexec_b32 s0, vcc_lo
	s_cbranch_execz .LBB0_27
; %bb.26:
	v_mul_lo_u32 v0, s3, v38
	v_mul_lo_u32 v1, s2, v39
	v_mad_u64_u32 v[4:5], null, s2, v38, 0
	v_lshl_add_u32 v18, v40, 3, v47
	v_mov_b32_e32 v41, 0
	v_lshlrev_b64 v[8:9], 3, v[36:37]
	v_add_nc_u32_e32 v10, 0x42, v40
	v_add_nc_u32_e32 v12, 0x84, v40
	v_add3_u32 v5, v5, v1, v0
	ds_read2_b64 v[0:3], v18 offset1:66
	v_mov_b32_e32 v11, v41
	v_lshlrev_b64 v[16:17], 3, v[40:41]
	v_mov_b32_e32 v13, v41
	v_lshlrev_b64 v[14:15], 3, v[4:5]
	ds_read2_b64 v[4:7], v18 offset0:132 offset1:198
	v_lshlrev_b64 v[10:11], 3, v[10:11]
	v_add_co_u32 v14, vcc_lo, s10, v14
	v_add_co_ci_u32_e32 v15, vcc_lo, s11, v15, vcc_lo
	v_add_co_u32 v20, vcc_lo, v14, v8
	v_add_co_ci_u32_e32 v21, vcc_lo, v15, v9, vcc_lo
	v_lshlrev_b64 v[8:9], 3, v[12:13]
	v_add_co_u32 v12, vcc_lo, v20, v16
	v_add_co_ci_u32_e32 v13, vcc_lo, v21, v17, vcc_lo
	v_add_co_u32 v10, vcc_lo, v20, v10
	v_add_co_ci_u32_e32 v11, vcc_lo, v21, v11, vcc_lo
	s_waitcnt lgkmcnt(1)
	global_store_dwordx2 v[12:13], v[0:1], off
	v_add_co_u32 v0, vcc_lo, v20, v8
	v_add_co_ci_u32_e32 v1, vcc_lo, v21, v9, vcc_lo
	v_add_nc_u32_e32 v14, 0x800, v18
	v_add_nc_u32_e32 v8, 0xc6, v40
	v_mov_b32_e32 v9, v41
	global_store_dwordx2 v[10:11], v[2:3], off
	s_waitcnt lgkmcnt(0)
	global_store_dwordx2 v[0:1], v[4:5], off
	v_add_nc_u32_e32 v12, 0x108, v40
	v_mov_b32_e32 v13, v41
	ds_read2_b64 v[0:3], v14 offset0:8 offset1:74
	v_lshlrev_b64 v[4:5], 3, v[8:9]
	v_add_nc_u32_e32 v10, 0x14a, v40
	v_mov_b32_e32 v11, v41
	v_lshlrev_b64 v[8:9], 3, v[12:13]
	v_add_nc_u32_e32 v12, 0x18c, v40
	v_mov_b32_e32 v15, v41
	v_add_co_u32 v4, vcc_lo, v20, v4
	v_lshlrev_b64 v[10:11], 3, v[10:11]
	v_add_co_ci_u32_e32 v5, vcc_lo, v21, v5, vcc_lo
	v_add_co_u32 v8, vcc_lo, v20, v8
	v_add_co_ci_u32_e32 v9, vcc_lo, v21, v9, vcc_lo
	v_add_co_u32 v10, vcc_lo, v20, v10
	v_add_co_ci_u32_e32 v11, vcc_lo, v21, v11, vcc_lo
	global_store_dwordx2 v[4:5], v[6:7], off
	s_waitcnt lgkmcnt(0)
	global_store_dwordx2 v[8:9], v[0:1], off
	global_store_dwordx2 v[10:11], v[2:3], off
	v_lshlrev_b64 v[4:5], 3, v[12:13]
	ds_read2_b64 v[0:3], v14 offset0:140 offset1:206
	v_add_nc_u32_e32 v6, 0x1ce, v40
	v_mov_b32_e32 v7, v41
	v_add_nc_u32_e32 v14, 0x1000, v18
	v_add_nc_u32_e32 v8, 0x210, v40
	v_mov_b32_e32 v9, v41
	v_add_co_u32 v10, vcc_lo, v20, v4
	v_add_co_ci_u32_e32 v11, vcc_lo, v21, v5, vcc_lo
	v_lshlrev_b64 v[12:13], 3, v[6:7]
	ds_read2_b64 v[4:7], v14 offset0:16 offset1:82
	v_add_nc_u32_e32 v14, 0x252, v40
	ds_read_b64 v[16:17], v18 offset:5280
	v_lshlrev_b64 v[8:9], 3, v[8:9]
	v_add_nc_u32_e32 v40, 0x294, v40
	v_add_co_u32 v12, vcc_lo, v20, v12
	v_lshlrev_b64 v[14:15], 3, v[14:15]
	v_add_co_ci_u32_e32 v13, vcc_lo, v21, v13, vcc_lo
	v_add_co_u32 v8, vcc_lo, v20, v8
	v_lshlrev_b64 v[18:19], 3, v[40:41]
	v_add_co_ci_u32_e32 v9, vcc_lo, v21, v9, vcc_lo
	v_add_co_u32 v14, vcc_lo, v20, v14
	v_add_co_ci_u32_e32 v15, vcc_lo, v21, v15, vcc_lo
	v_add_co_u32 v18, vcc_lo, v20, v18
	v_add_co_ci_u32_e32 v19, vcc_lo, v21, v19, vcc_lo
	s_waitcnt lgkmcnt(2)
	global_store_dwordx2 v[10:11], v[0:1], off
	global_store_dwordx2 v[12:13], v[2:3], off
	s_waitcnt lgkmcnt(1)
	global_store_dwordx2 v[8:9], v[4:5], off
	global_store_dwordx2 v[14:15], v[6:7], off
	s_waitcnt lgkmcnt(0)
	global_store_dwordx2 v[18:19], v[16:17], off
.LBB0_27:
	s_endpgm
	.section	.rodata,"a",@progbits
	.p2align	6, 0x0
	.amdhsa_kernel fft_rtc_back_len726_factors_11_6_11_wgs_132_tpt_66_sp_op_CI_CI_unitstride_sbrr_C2R_dirReg
		.amdhsa_group_segment_fixed_size 0
		.amdhsa_private_segment_fixed_size 0
		.amdhsa_kernarg_size 104
		.amdhsa_user_sgpr_count 6
		.amdhsa_user_sgpr_private_segment_buffer 1
		.amdhsa_user_sgpr_dispatch_ptr 0
		.amdhsa_user_sgpr_queue_ptr 0
		.amdhsa_user_sgpr_kernarg_segment_ptr 1
		.amdhsa_user_sgpr_dispatch_id 0
		.amdhsa_user_sgpr_flat_scratch_init 0
		.amdhsa_user_sgpr_private_segment_size 0
		.amdhsa_wavefront_size32 1
		.amdhsa_uses_dynamic_stack 0
		.amdhsa_system_sgpr_private_segment_wavefront_offset 0
		.amdhsa_system_sgpr_workgroup_id_x 1
		.amdhsa_system_sgpr_workgroup_id_y 0
		.amdhsa_system_sgpr_workgroup_id_z 0
		.amdhsa_system_sgpr_workgroup_info 0
		.amdhsa_system_vgpr_workitem_id 0
		.amdhsa_next_free_vgpr 128
		.amdhsa_next_free_sgpr 27
		.amdhsa_reserve_vcc 1
		.amdhsa_reserve_flat_scratch 0
		.amdhsa_float_round_mode_32 0
		.amdhsa_float_round_mode_16_64 0
		.amdhsa_float_denorm_mode_32 3
		.amdhsa_float_denorm_mode_16_64 3
		.amdhsa_dx10_clamp 1
		.amdhsa_ieee_mode 1
		.amdhsa_fp16_overflow 0
		.amdhsa_workgroup_processor_mode 1
		.amdhsa_memory_ordered 1
		.amdhsa_forward_progress 0
		.amdhsa_shared_vgpr_count 0
		.amdhsa_exception_fp_ieee_invalid_op 0
		.amdhsa_exception_fp_denorm_src 0
		.amdhsa_exception_fp_ieee_div_zero 0
		.amdhsa_exception_fp_ieee_overflow 0
		.amdhsa_exception_fp_ieee_underflow 0
		.amdhsa_exception_fp_ieee_inexact 0
		.amdhsa_exception_int_div_zero 0
	.end_amdhsa_kernel
	.text
.Lfunc_end0:
	.size	fft_rtc_back_len726_factors_11_6_11_wgs_132_tpt_66_sp_op_CI_CI_unitstride_sbrr_C2R_dirReg, .Lfunc_end0-fft_rtc_back_len726_factors_11_6_11_wgs_132_tpt_66_sp_op_CI_CI_unitstride_sbrr_C2R_dirReg
                                        ; -- End function
	.section	.AMDGPU.csdata,"",@progbits
; Kernel info:
; codeLenInByte = 8776
; NumSgprs: 29
; NumVgprs: 128
; ScratchSize: 0
; MemoryBound: 0
; FloatMode: 240
; IeeeMode: 1
; LDSByteSize: 0 bytes/workgroup (compile time only)
; SGPRBlocks: 3
; VGPRBlocks: 15
; NumSGPRsForWavesPerEU: 29
; NumVGPRsForWavesPerEU: 128
; Occupancy: 8
; WaveLimiterHint : 1
; COMPUTE_PGM_RSRC2:SCRATCH_EN: 0
; COMPUTE_PGM_RSRC2:USER_SGPR: 6
; COMPUTE_PGM_RSRC2:TRAP_HANDLER: 0
; COMPUTE_PGM_RSRC2:TGID_X_EN: 1
; COMPUTE_PGM_RSRC2:TGID_Y_EN: 0
; COMPUTE_PGM_RSRC2:TGID_Z_EN: 0
; COMPUTE_PGM_RSRC2:TIDIG_COMP_CNT: 0
	.text
	.p2alignl 6, 3214868480
	.fill 48, 4, 3214868480
	.type	__hip_cuid_6a0dcf6c1f79752f,@object ; @__hip_cuid_6a0dcf6c1f79752f
	.section	.bss,"aw",@nobits
	.globl	__hip_cuid_6a0dcf6c1f79752f
__hip_cuid_6a0dcf6c1f79752f:
	.byte	0                               ; 0x0
	.size	__hip_cuid_6a0dcf6c1f79752f, 1

	.ident	"AMD clang version 19.0.0git (https://github.com/RadeonOpenCompute/llvm-project roc-6.4.0 25133 c7fe45cf4b819c5991fe208aaa96edf142730f1d)"
	.section	".note.GNU-stack","",@progbits
	.addrsig
	.addrsig_sym __hip_cuid_6a0dcf6c1f79752f
	.amdgpu_metadata
---
amdhsa.kernels:
  - .args:
      - .actual_access:  read_only
        .address_space:  global
        .offset:         0
        .size:           8
        .value_kind:     global_buffer
      - .offset:         8
        .size:           8
        .value_kind:     by_value
      - .actual_access:  read_only
        .address_space:  global
        .offset:         16
        .size:           8
        .value_kind:     global_buffer
      - .actual_access:  read_only
        .address_space:  global
        .offset:         24
        .size:           8
        .value_kind:     global_buffer
      - .actual_access:  read_only
        .address_space:  global
        .offset:         32
        .size:           8
        .value_kind:     global_buffer
      - .offset:         40
        .size:           8
        .value_kind:     by_value
      - .actual_access:  read_only
        .address_space:  global
        .offset:         48
        .size:           8
        .value_kind:     global_buffer
      - .actual_access:  read_only
        .address_space:  global
        .offset:         56
        .size:           8
        .value_kind:     global_buffer
      - .offset:         64
        .size:           4
        .value_kind:     by_value
      - .actual_access:  read_only
        .address_space:  global
        .offset:         72
        .size:           8
        .value_kind:     global_buffer
      - .actual_access:  read_only
        .address_space:  global
        .offset:         80
        .size:           8
        .value_kind:     global_buffer
      - .actual_access:  read_only
        .address_space:  global
        .offset:         88
        .size:           8
        .value_kind:     global_buffer
      - .actual_access:  write_only
        .address_space:  global
        .offset:         96
        .size:           8
        .value_kind:     global_buffer
    .group_segment_fixed_size: 0
    .kernarg_segment_align: 8
    .kernarg_segment_size: 104
    .language:       OpenCL C
    .language_version:
      - 2
      - 0
    .max_flat_workgroup_size: 132
    .name:           fft_rtc_back_len726_factors_11_6_11_wgs_132_tpt_66_sp_op_CI_CI_unitstride_sbrr_C2R_dirReg
    .private_segment_fixed_size: 0
    .sgpr_count:     29
    .sgpr_spill_count: 0
    .symbol:         fft_rtc_back_len726_factors_11_6_11_wgs_132_tpt_66_sp_op_CI_CI_unitstride_sbrr_C2R_dirReg.kd
    .uniform_work_group_size: 1
    .uses_dynamic_stack: false
    .vgpr_count:     128
    .vgpr_spill_count: 0
    .wavefront_size: 32
    .workgroup_processor_mode: 1
amdhsa.target:   amdgcn-amd-amdhsa--gfx1030
amdhsa.version:
  - 1
  - 2
...

	.end_amdgpu_metadata
